;; amdgpu-corpus repo=ROCm/rocFFT kind=compiled arch=gfx1030 opt=O3
	.text
	.amdgcn_target "amdgcn-amd-amdhsa--gfx1030"
	.amdhsa_code_object_version 6
	.protected	fft_rtc_back_len1584_factors_4_2_2_11_3_3_wgs_176_tpt_176_halfLds_half_op_CI_CI_unitstride_sbrr_C2R_dirReg ; -- Begin function fft_rtc_back_len1584_factors_4_2_2_11_3_3_wgs_176_tpt_176_halfLds_half_op_CI_CI_unitstride_sbrr_C2R_dirReg
	.globl	fft_rtc_back_len1584_factors_4_2_2_11_3_3_wgs_176_tpt_176_halfLds_half_op_CI_CI_unitstride_sbrr_C2R_dirReg
	.p2align	8
	.type	fft_rtc_back_len1584_factors_4_2_2_11_3_3_wgs_176_tpt_176_halfLds_half_op_CI_CI_unitstride_sbrr_C2R_dirReg,@function
fft_rtc_back_len1584_factors_4_2_2_11_3_3_wgs_176_tpt_176_halfLds_half_op_CI_CI_unitstride_sbrr_C2R_dirReg: ; @fft_rtc_back_len1584_factors_4_2_2_11_3_3_wgs_176_tpt_176_halfLds_half_op_CI_CI_unitstride_sbrr_C2R_dirReg
; %bb.0:
	s_clause 0x2
	s_load_dwordx4 s[12:15], s[4:5], 0x0
	s_load_dwordx4 s[8:11], s[4:5], 0x58
	;; [unrolled: 1-line block ×3, first 2 shown]
	v_mul_u32_u24_e32 v1, 0x175, v0
	v_mov_b32_e32 v3, 0
	v_add_nc_u32_sdwa v5, s6, v1 dst_sel:DWORD dst_unused:UNUSED_PAD src0_sel:DWORD src1_sel:WORD_1
	v_mov_b32_e32 v1, 0
	v_mov_b32_e32 v6, v3
	v_mov_b32_e32 v2, 0
	s_waitcnt lgkmcnt(0)
	v_cmp_lt_u64_e64 s0, s[14:15], 2
	s_and_b32 vcc_lo, exec_lo, s0
	s_cbranch_vccnz .LBB0_8
; %bb.1:
	s_load_dwordx2 s[0:1], s[4:5], 0x10
	v_mov_b32_e32 v1, 0
	v_mov_b32_e32 v2, 0
	s_add_u32 s2, s18, 8
	s_addc_u32 s3, s19, 0
	s_add_u32 s6, s16, 8
	s_addc_u32 s7, s17, 0
	v_mov_b32_e32 v9, v2
	v_mov_b32_e32 v8, v1
	s_mov_b64 s[22:23], 1
	s_waitcnt lgkmcnt(0)
	s_add_u32 s20, s0, 8
	s_addc_u32 s21, s1, 0
.LBB0_2:                                ; =>This Inner Loop Header: Depth=1
	s_load_dwordx2 s[24:25], s[20:21], 0x0
                                        ; implicit-def: $vgpr10_vgpr11
	s_mov_b32 s0, exec_lo
	s_waitcnt lgkmcnt(0)
	v_or_b32_e32 v4, s25, v6
	v_cmpx_ne_u64_e32 0, v[3:4]
	s_xor_b32 s1, exec_lo, s0
	s_cbranch_execz .LBB0_4
; %bb.3:                                ;   in Loop: Header=BB0_2 Depth=1
	v_cvt_f32_u32_e32 v4, s24
	v_cvt_f32_u32_e32 v7, s25
	s_sub_u32 s0, 0, s24
	s_subb_u32 s26, 0, s25
	v_fmac_f32_e32 v4, 0x4f800000, v7
	v_rcp_f32_e32 v4, v4
	v_mul_f32_e32 v4, 0x5f7ffffc, v4
	v_mul_f32_e32 v7, 0x2f800000, v4
	v_trunc_f32_e32 v7, v7
	v_fmac_f32_e32 v4, 0xcf800000, v7
	v_cvt_u32_f32_e32 v7, v7
	v_cvt_u32_f32_e32 v4, v4
	v_mul_lo_u32 v10, s0, v7
	v_mul_hi_u32 v11, s0, v4
	v_mul_lo_u32 v12, s26, v4
	v_add_nc_u32_e32 v10, v11, v10
	v_mul_lo_u32 v11, s0, v4
	v_add_nc_u32_e32 v10, v10, v12
	v_mul_hi_u32 v12, v4, v11
	v_mul_lo_u32 v13, v4, v10
	v_mul_hi_u32 v14, v4, v10
	v_mul_hi_u32 v15, v7, v11
	v_mul_lo_u32 v11, v7, v11
	v_mul_hi_u32 v16, v7, v10
	v_mul_lo_u32 v10, v7, v10
	v_add_co_u32 v12, vcc_lo, v12, v13
	v_add_co_ci_u32_e32 v13, vcc_lo, 0, v14, vcc_lo
	v_add_co_u32 v11, vcc_lo, v12, v11
	v_add_co_ci_u32_e32 v11, vcc_lo, v13, v15, vcc_lo
	v_add_co_ci_u32_e32 v12, vcc_lo, 0, v16, vcc_lo
	v_add_co_u32 v10, vcc_lo, v11, v10
	v_add_co_ci_u32_e32 v11, vcc_lo, 0, v12, vcc_lo
	v_add_co_u32 v4, vcc_lo, v4, v10
	v_add_co_ci_u32_e32 v7, vcc_lo, v7, v11, vcc_lo
	v_mul_hi_u32 v10, s0, v4
	v_mul_lo_u32 v12, s26, v4
	v_mul_lo_u32 v11, s0, v7
	v_add_nc_u32_e32 v10, v10, v11
	v_mul_lo_u32 v11, s0, v4
	v_add_nc_u32_e32 v10, v10, v12
	v_mul_hi_u32 v12, v4, v11
	v_mul_lo_u32 v13, v4, v10
	v_mul_hi_u32 v14, v4, v10
	v_mul_hi_u32 v15, v7, v11
	v_mul_lo_u32 v11, v7, v11
	v_mul_hi_u32 v16, v7, v10
	v_mul_lo_u32 v10, v7, v10
	v_add_co_u32 v12, vcc_lo, v12, v13
	v_add_co_ci_u32_e32 v13, vcc_lo, 0, v14, vcc_lo
	v_add_co_u32 v11, vcc_lo, v12, v11
	v_add_co_ci_u32_e32 v11, vcc_lo, v13, v15, vcc_lo
	v_add_co_ci_u32_e32 v12, vcc_lo, 0, v16, vcc_lo
	v_add_co_u32 v10, vcc_lo, v11, v10
	v_add_co_ci_u32_e32 v11, vcc_lo, 0, v12, vcc_lo
	v_add_co_u32 v4, vcc_lo, v4, v10
	v_add_co_ci_u32_e32 v7, vcc_lo, v7, v11, vcc_lo
	v_mul_hi_u32 v16, v5, v4
	v_mad_u64_u32 v[12:13], null, v6, v4, 0
	v_mad_u64_u32 v[10:11], null, v5, v7, 0
	;; [unrolled: 1-line block ×3, first 2 shown]
	v_add_co_u32 v4, vcc_lo, v16, v10
	v_add_co_ci_u32_e32 v7, vcc_lo, 0, v11, vcc_lo
	v_add_co_u32 v4, vcc_lo, v4, v12
	v_add_co_ci_u32_e32 v4, vcc_lo, v7, v13, vcc_lo
	v_add_co_ci_u32_e32 v7, vcc_lo, 0, v15, vcc_lo
	v_add_co_u32 v4, vcc_lo, v4, v14
	v_add_co_ci_u32_e32 v7, vcc_lo, 0, v7, vcc_lo
	v_mul_lo_u32 v12, s25, v4
	v_mad_u64_u32 v[10:11], null, s24, v4, 0
	v_mul_lo_u32 v13, s24, v7
	v_sub_co_u32 v10, vcc_lo, v5, v10
	v_add3_u32 v11, v11, v13, v12
	v_sub_nc_u32_e32 v12, v6, v11
	v_subrev_co_ci_u32_e64 v12, s0, s25, v12, vcc_lo
	v_add_co_u32 v13, s0, v4, 2
	v_add_co_ci_u32_e64 v14, s0, 0, v7, s0
	v_sub_co_u32 v15, s0, v10, s24
	v_sub_co_ci_u32_e32 v11, vcc_lo, v6, v11, vcc_lo
	v_subrev_co_ci_u32_e64 v12, s0, 0, v12, s0
	v_cmp_le_u32_e32 vcc_lo, s24, v15
	v_cmp_eq_u32_e64 s0, s25, v11
	v_cndmask_b32_e64 v15, 0, -1, vcc_lo
	v_cmp_le_u32_e32 vcc_lo, s25, v12
	v_cndmask_b32_e64 v16, 0, -1, vcc_lo
	v_cmp_le_u32_e32 vcc_lo, s24, v10
	;; [unrolled: 2-line block ×3, first 2 shown]
	v_cndmask_b32_e64 v17, 0, -1, vcc_lo
	v_cmp_eq_u32_e32 vcc_lo, s25, v12
	v_cndmask_b32_e64 v10, v17, v10, s0
	v_cndmask_b32_e32 v12, v16, v15, vcc_lo
	v_add_co_u32 v15, vcc_lo, v4, 1
	v_add_co_ci_u32_e32 v16, vcc_lo, 0, v7, vcc_lo
	v_cmp_ne_u32_e32 vcc_lo, 0, v12
	v_cndmask_b32_e32 v11, v16, v14, vcc_lo
	v_cndmask_b32_e32 v12, v15, v13, vcc_lo
	v_cmp_ne_u32_e32 vcc_lo, 0, v10
	v_cndmask_b32_e32 v11, v7, v11, vcc_lo
	v_cndmask_b32_e32 v10, v4, v12, vcc_lo
.LBB0_4:                                ;   in Loop: Header=BB0_2 Depth=1
	s_andn2_saveexec_b32 s0, s1
	s_cbranch_execz .LBB0_6
; %bb.5:                                ;   in Loop: Header=BB0_2 Depth=1
	v_cvt_f32_u32_e32 v4, s24
	s_sub_i32 s1, 0, s24
	v_rcp_iflag_f32_e32 v4, v4
	v_mul_f32_e32 v4, 0x4f7ffffe, v4
	v_cvt_u32_f32_e32 v4, v4
	v_mul_lo_u32 v7, s1, v4
	v_mul_hi_u32 v7, v4, v7
	v_add_nc_u32_e32 v4, v4, v7
	v_mul_hi_u32 v4, v5, v4
	v_mul_lo_u32 v7, v4, s24
	v_add_nc_u32_e32 v10, 1, v4
	v_sub_nc_u32_e32 v7, v5, v7
	v_subrev_nc_u32_e32 v11, s24, v7
	v_cmp_le_u32_e32 vcc_lo, s24, v7
	v_cndmask_b32_e32 v7, v7, v11, vcc_lo
	v_cndmask_b32_e32 v4, v4, v10, vcc_lo
	v_mov_b32_e32 v11, v3
	v_cmp_le_u32_e32 vcc_lo, s24, v7
	v_add_nc_u32_e32 v10, 1, v4
	v_cndmask_b32_e32 v10, v4, v10, vcc_lo
.LBB0_6:                                ;   in Loop: Header=BB0_2 Depth=1
	s_or_b32 exec_lo, exec_lo, s0
	v_mul_lo_u32 v4, v11, s24
	v_mul_lo_u32 v7, v10, s25
	s_load_dwordx2 s[0:1], s[6:7], 0x0
	v_mad_u64_u32 v[12:13], null, v10, s24, 0
	s_load_dwordx2 s[24:25], s[2:3], 0x0
	s_add_u32 s22, s22, 1
	s_addc_u32 s23, s23, 0
	s_add_u32 s2, s2, 8
	s_addc_u32 s3, s3, 0
	s_add_u32 s6, s6, 8
	v_add3_u32 v4, v13, v7, v4
	v_sub_co_u32 v5, vcc_lo, v5, v12
	s_addc_u32 s7, s7, 0
	s_add_u32 s20, s20, 8
	v_sub_co_ci_u32_e32 v4, vcc_lo, v6, v4, vcc_lo
	s_addc_u32 s21, s21, 0
	s_waitcnt lgkmcnt(0)
	v_mul_lo_u32 v6, s0, v4
	v_mul_lo_u32 v7, s1, v5
	v_mad_u64_u32 v[1:2], null, s0, v5, v[1:2]
	v_mul_lo_u32 v4, s24, v4
	v_mul_lo_u32 v12, s25, v5
	v_mad_u64_u32 v[8:9], null, s24, v5, v[8:9]
	v_cmp_ge_u64_e64 s0, s[22:23], s[14:15]
	v_add3_u32 v2, v7, v2, v6
	v_add3_u32 v9, v12, v9, v4
	s_and_b32 vcc_lo, exec_lo, s0
	s_cbranch_vccnz .LBB0_9
; %bb.7:                                ;   in Loop: Header=BB0_2 Depth=1
	v_mov_b32_e32 v5, v10
	v_mov_b32_e32 v6, v11
	s_branch .LBB0_2
.LBB0_8:
	v_mov_b32_e32 v9, v2
	v_mov_b32_e32 v11, v6
	;; [unrolled: 1-line block ×4, first 2 shown]
.LBB0_9:
	s_load_dwordx2 s[0:1], s[4:5], 0x28
	v_mul_hi_u32 v3, 0x1745d18, v0
	s_lshl_b64 s[4:5], s[14:15], 3
                                        ; implicit-def: $vgpr12
	s_add_u32 s2, s18, s4
	s_addc_u32 s3, s19, s5
	s_waitcnt lgkmcnt(0)
	v_cmp_gt_u64_e32 vcc_lo, s[0:1], v[10:11]
	v_cmp_le_u64_e64 s0, s[0:1], v[10:11]
	s_and_saveexec_b32 s1, s0
	s_xor_b32 s0, exec_lo, s1
; %bb.10:
	v_mul_u32_u24_e32 v1, 0xb0, v3
                                        ; implicit-def: $vgpr3
	v_sub_nc_u32_e32 v12, v0, v1
                                        ; implicit-def: $vgpr0
                                        ; implicit-def: $vgpr1_vgpr2
; %bb.11:
	s_or_saveexec_b32 s1, s0
	s_load_dwordx2 s[2:3], s[2:3], 0x0
	s_xor_b32 exec_lo, exec_lo, s1
	s_cbranch_execz .LBB0_15
; %bb.12:
	s_add_u32 s4, s16, s4
	s_addc_u32 s5, s17, s5
	v_lshlrev_b64 v[1:2], 2, v[1:2]
	s_load_dwordx2 s[4:5], s[4:5], 0x0
	s_waitcnt lgkmcnt(0)
	v_mul_lo_u32 v6, s5, v10
	v_mul_lo_u32 v7, s4, v11
	v_mad_u64_u32 v[4:5], null, s4, v10, 0
	s_mov_b32 s4, exec_lo
	v_add3_u32 v5, v5, v7, v6
	v_mul_u32_u24_e32 v6, 0xb0, v3
	v_lshlrev_b64 v[3:4], 2, v[4:5]
	v_sub_nc_u32_e32 v12, v0, v6
	v_lshlrev_b32_e32 v13, 2, v12
	v_add_co_u32 v0, s0, s8, v3
	v_add_co_ci_u32_e64 v3, s0, s9, v4, s0
	v_add_co_u32 v0, s0, v0, v1
	v_add_co_ci_u32_e64 v1, s0, v3, v2, s0
	;; [unrolled: 2-line block ×5, first 2 shown]
	s_clause 0x8
	global_load_dword v14, v[2:3], off
	global_load_dword v15, v[2:3], off offset:704
	global_load_dword v2, v[2:3], off offset:1408
	;; [unrolled: 1-line block ×8, first 2 shown]
	v_add_nc_u32_e32 v7, 0, v13
	v_add_nc_u32_e32 v13, 0x500, v7
	;; [unrolled: 1-line block ×4, first 2 shown]
	s_waitcnt vmcnt(7)
	ds_write2_b32 v7, v14, v15 offset1:176
	s_waitcnt vmcnt(5)
	ds_write2_b32 v13, v2, v3 offset0:32 offset1:208
	s_waitcnt vmcnt(3)
	ds_write2_b32 v18, v16, v4 offset0:64 offset1:240
	;; [unrolled: 2-line block ×3, first 2 shown]
	s_waitcnt vmcnt(0)
	ds_write_b32 v7, v6 offset:5632
	v_cmpx_eq_u32_e32 0xaf, v12
	s_cbranch_execz .LBB0_14
; %bb.13:
	v_add_co_u32 v0, s0, 0x1800, v0
	v_add_co_ci_u32_e64 v1, s0, 0, v1, s0
	v_mov_b32_e32 v12, 0xaf
	global_load_dword v0, v[0:1], off offset:192
	v_mov_b32_e32 v1, 0
	s_waitcnt vmcnt(0)
	ds_write_b32 v1, v0 offset:6336
.LBB0_14:
	s_or_b32 exec_lo, exec_lo, s4
.LBB0_15:
	s_or_b32 exec_lo, exec_lo, s1
	v_lshlrev_b32_e32 v0, 2, v12
	s_waitcnt lgkmcnt(0)
	s_barrier
	buffer_gl0_inv
	s_add_u32 s1, s12, 0x18b0
	v_add_nc_u32_e32 v29, 0, v0
	v_sub_nc_u32_e32 v2, 0, v0
	s_addc_u32 s4, s13, 0
	s_mov_b32 s5, exec_lo
                                        ; implicit-def: $vgpr0_vgpr1
	ds_read_u16 v5, v29
	ds_read_u16 v6, v2 offset:6336
	s_waitcnt lgkmcnt(0)
	v_add_f16_e32 v4, v6, v5
	v_sub_f16_e32 v3, v5, v6
	v_cmpx_ne_u32_e32 0, v12
	s_xor_b32 s5, exec_lo, s5
	s_cbranch_execz .LBB0_17
; %bb.16:
	v_mov_b32_e32 v13, 0
	v_add_f16_e32 v4, v6, v5
	v_sub_f16_e32 v5, v5, v6
	v_lshlrev_b64 v[0:1], 2, v[12:13]
	v_add_co_u32 v0, s0, s1, v0
	v_add_co_ci_u32_e64 v1, s0, s4, v1, s0
	global_load_dword v0, v[0:1], off
	ds_read_u16 v1, v2 offset:6338
	ds_read_u16 v3, v29 offset:2
	s_waitcnt lgkmcnt(0)
	v_add_f16_e32 v6, v1, v3
	v_sub_f16_e32 v1, v3, v1
	s_waitcnt vmcnt(0)
	v_lshrrev_b32_e32 v7, 16, v0
	v_fma_f16 v14, -v5, v7, v4
	v_fma_f16 v15, v6, v7, -v1
	v_fma_f16 v3, v6, v7, v1
	v_fma_f16 v4, v5, v7, v4
	v_fmac_f16_e32 v14, v0, v6
	v_fmac_f16_e32 v15, v5, v0
	v_fmac_f16_e32 v3, v5, v0
	v_fma_f16 v4, -v0, v6, v4
	v_mov_b32_e32 v0, v12
	v_mov_b32_e32 v1, v13
	v_pack_b32_f16 v5, v14, v15
	ds_write_b32 v2, v5 offset:6336
.LBB0_17:
	s_andn2_saveexec_b32 s0, s5
	s_cbranch_execz .LBB0_19
; %bb.18:
	v_mov_b32_e32 v5, 0
	ds_read_b32 v0, v5 offset:3168
	s_waitcnt lgkmcnt(0)
	v_pk_mul_f16 v6, 0xc0004000, v0
	v_mov_b32_e32 v0, 0
	v_mov_b32_e32 v1, 0
	ds_write_b32 v5, v6 offset:3168
.LBB0_19:
	s_or_b32 exec_lo, exec_lo, s0
	v_lshlrev_b64 v[0:1], 2, v[0:1]
	v_perm_b32 v3, v3, v4, 0x5040100
	v_add_co_u32 v0, s0, s1, v0
	v_add_co_ci_u32_e64 v1, s0, s4, v1, s0
	s_clause 0x1
	global_load_dword v5, v[0:1], off offset:704
	global_load_dword v6, v[0:1], off offset:1408
	v_add_co_u32 v0, s0, 0x800, v0
	v_add_co_ci_u32_e64 v1, s0, 0, v1, s0
	ds_write_b32 v29, v3
	v_cmp_gt_u32_e64 s0, 0x58, v12
	global_load_dword v7, v[0:1], off offset:64
	ds_read_b32 v3, v29 offset:704
	ds_read_b32 v4, v2 offset:5632
	s_waitcnt lgkmcnt(0)
	v_add_f16_e32 v13, v3, v4
	v_add_f16_sdwa v14, v4, v3 dst_sel:DWORD dst_unused:UNUSED_PAD src0_sel:WORD_1 src1_sel:WORD_1
	v_sub_f16_e32 v15, v3, v4
	v_sub_f16_sdwa v3, v3, v4 dst_sel:DWORD dst_unused:UNUSED_PAD src0_sel:WORD_1 src1_sel:WORD_1
	s_waitcnt vmcnt(2)
	v_lshrrev_b32_e32 v16, 16, v5
	v_fma_f16 v4, v15, v16, v13
	v_fma_f16 v17, v14, v16, v3
	v_fma_f16 v13, -v15, v16, v13
	v_fma_f16 v3, v14, v16, -v3
	v_fma_f16 v4, -v5, v14, v4
	v_fmac_f16_e32 v17, v15, v5
	v_fmac_f16_e32 v13, v5, v14
	;; [unrolled: 1-line block ×3, first 2 shown]
	s_waitcnt vmcnt(1)
	v_lshrrev_b32_e32 v5, 16, v6
	v_pack_b32_f16 v4, v4, v17
	v_pack_b32_f16 v3, v13, v3
	ds_write_b32 v29, v4 offset:704
	ds_write_b32 v2, v3 offset:5632
	ds_read_b32 v3, v29 offset:1408
	ds_read_b32 v4, v2 offset:4928
	s_waitcnt lgkmcnt(0)
	v_add_f16_e32 v13, v3, v4
	v_add_f16_sdwa v14, v4, v3 dst_sel:DWORD dst_unused:UNUSED_PAD src0_sel:WORD_1 src1_sel:WORD_1
	v_sub_f16_e32 v15, v3, v4
	v_sub_f16_sdwa v3, v3, v4 dst_sel:DWORD dst_unused:UNUSED_PAD src0_sel:WORD_1 src1_sel:WORD_1
	v_fma_f16 v4, v15, v5, v13
	v_fma_f16 v16, v14, v5, v3
	v_fma_f16 v13, -v15, v5, v13
	v_fma_f16 v3, v14, v5, -v3
	s_waitcnt vmcnt(0)
	v_lshrrev_b32_e32 v5, 16, v7
	v_fma_f16 v4, -v6, v14, v4
	v_fmac_f16_e32 v16, v15, v6
	v_fmac_f16_e32 v13, v6, v14
	;; [unrolled: 1-line block ×3, first 2 shown]
	v_pack_b32_f16 v4, v4, v16
	v_pack_b32_f16 v3, v13, v3
	ds_write_b32 v29, v4 offset:1408
	ds_write_b32 v2, v3 offset:4928
	ds_read_b32 v3, v29 offset:2112
	ds_read_b32 v4, v2 offset:4224
	s_waitcnt lgkmcnt(0)
	v_add_f16_e32 v6, v3, v4
	v_add_f16_sdwa v13, v4, v3 dst_sel:DWORD dst_unused:UNUSED_PAD src0_sel:WORD_1 src1_sel:WORD_1
	v_sub_f16_e32 v14, v3, v4
	v_sub_f16_sdwa v3, v3, v4 dst_sel:DWORD dst_unused:UNUSED_PAD src0_sel:WORD_1 src1_sel:WORD_1
	v_fma_f16 v4, v14, v5, v6
	v_fma_f16 v15, v13, v5, v3
	v_fma_f16 v6, -v14, v5, v6
	v_fma_f16 v3, v13, v5, -v3
	v_fma_f16 v4, -v7, v13, v4
	v_fmac_f16_e32 v15, v14, v7
	v_fmac_f16_e32 v6, v7, v13
	;; [unrolled: 1-line block ×3, first 2 shown]
	v_pack_b32_f16 v4, v4, v15
	v_pack_b32_f16 v3, v6, v3
	ds_write_b32 v29, v4 offset:2112
	ds_write_b32 v2, v3 offset:4224
	s_and_saveexec_b32 s1, s0
	s_cbranch_execz .LBB0_21
; %bb.20:
	global_load_dword v0, v[0:1], off offset:768
	ds_read_b32 v1, v29 offset:2816
	ds_read_b32 v3, v2 offset:3520
	s_waitcnt lgkmcnt(0)
	v_add_f16_e32 v4, v1, v3
	v_add_f16_sdwa v5, v3, v1 dst_sel:DWORD dst_unused:UNUSED_PAD src0_sel:WORD_1 src1_sel:WORD_1
	v_sub_f16_e32 v6, v1, v3
	v_sub_f16_sdwa v1, v1, v3 dst_sel:DWORD dst_unused:UNUSED_PAD src0_sel:WORD_1 src1_sel:WORD_1
	s_waitcnt vmcnt(0)
	v_lshrrev_b32_e32 v7, 16, v0
	v_fma_f16 v3, v6, v7, v4
	v_fma_f16 v13, v5, v7, v1
	v_fma_f16 v4, -v6, v7, v4
	v_fma_f16 v1, v5, v7, -v1
	v_fma_f16 v3, -v0, v5, v3
	v_fmac_f16_e32 v13, v6, v0
	v_fmac_f16_e32 v4, v0, v5
	;; [unrolled: 1-line block ×3, first 2 shown]
	v_pack_b32_f16 v0, v3, v13
	v_pack_b32_f16 v1, v4, v1
	ds_write_b32 v29, v0 offset:2816
	ds_write_b32 v2, v1 offset:3520
.LBB0_21:
	s_or_b32 exec_lo, exec_lo, s1
	v_add_nc_u32_e32 v0, 0x400, v29
	v_add_nc_u32_e32 v3, 0x800, v29
	v_add_nc_u32_e32 v5, 0x1000, v29
	v_add_nc_u32_e32 v7, 0x1500, v29
	v_add_nc_u32_e32 v2, 0xc00, v29
	s_waitcnt lgkmcnt(0)
	s_barrier
	buffer_gl0_inv
	s_barrier
	buffer_gl0_inv
	ds_read2_b32 v[0:1], v0 offset0:96 offset1:140
	ds_read2_b32 v[3:4], v3 offset0:60 offset1:236
	;; [unrolled: 1-line block ×4, first 2 shown]
	ds_read2_b32 v[19:20], v29 offset1:176
	ds_read2_b32 v[17:18], v2 offset0:24 offset1:200
	v_add_nc_u32_e32 v13, 0xb0, v12
	v_add_nc_u32_e32 v30, 0x160, v12
	v_mad_u32_u24 v14, v12, 12, v29
	s_mov_b32 s4, exec_lo
	s_waitcnt lgkmcnt(0)
	s_barrier
	buffer_gl0_inv
	v_pk_add_f16 v7, v4, v16 neg_lo:[0,1] neg_hi:[0,1]
	v_pk_add_f16 v5, v0, v5 neg_lo:[0,1] neg_hi:[0,1]
	;; [unrolled: 1-line block ×5, first 2 shown]
	v_pk_fma_f16 v4, v4, 2.0, v7 op_sel_hi:[1,0,1] neg_lo:[0,0,1] neg_hi:[0,0,1]
	v_pk_fma_f16 v17, v0, 2.0, v5 op_sel_hi:[1,0,1] neg_lo:[0,0,1] neg_hi:[0,0,1]
	;; [unrolled: 1-line block ×4, first 2 shown]
	v_pk_add_f16 v22, v3, v15 neg_lo:[0,1] neg_hi:[0,1]
	v_lshrrev_b32_e32 v18, 16, v5
	v_pk_add_f16 v15, v17, v4 neg_lo:[0,1] neg_hi:[0,1]
	v_add_f16_sdwa v0, v5, v7 dst_sel:DWORD dst_unused:UNUSED_PAD src0_sel:DWORD src1_sel:WORD_1
	v_pk_add_f16 v4, v23, v19 neg_lo:[0,1] neg_hi:[0,1]
	v_alignbit_b32 v24, s0, v6, 16
	v_sub_f16_e32 v1, v18, v7
	v_alignbit_b32 v25, s0, v22, 16
	v_fma_f16 v19, v5, 2.0, -v0
	v_pk_fma_f16 v7, v23, 2.0, v4 op_sel_hi:[1,0,1] neg_lo:[0,0,1] neg_hi:[0,0,1]
	v_alignbit_b32 v23, s0, v16, 16
	v_pk_add_f16 v5, v16, v24
	v_lshrrev_b32_e32 v24, 16, v16
	v_pk_fma_f16 v20, v20, 2.0, v21 op_sel_hi:[1,0,1] neg_lo:[0,0,1] neg_hi:[0,0,1]
	v_pk_fma_f16 v3, v3, 2.0, v22 op_sel_hi:[1,0,1] neg_lo:[0,0,1] neg_hi:[0,0,1]
	v_pk_add_f16 v6, v23, v6 neg_lo:[0,1] neg_hi:[0,1]
	v_alignbit_b32 v23, s0, v21, 16
	v_pk_add_f16 v25, v21, v25
	v_lshrrev_b32_e32 v26, 16, v21
	v_fma_f16 v16, v16, 2.0, -v5
	v_pk_add_f16 v3, v20, v3 neg_lo:[0,1] neg_hi:[0,1]
	v_pk_add_f16 v22, v23, v22 neg_lo:[0,1] neg_hi:[0,1]
	v_fma_f16 v23, v24, 2.0, -v6
	v_fma_f16 v21, v21, 2.0, -v25
	v_pk_fma_f16 v17, v17, 2.0, v15 op_sel_hi:[1,0,1] neg_lo:[0,0,1] neg_hi:[0,0,1]
	v_fma_f16 v18, v18, 2.0, -v1
	v_fma_f16 v26, v26, 2.0, -v22
	v_pack_b32_f16 v16, v16, v23
	v_pack_b32_f16 v5, v5, v6
	v_lshl_add_u32 v24, v13, 4, 0
	v_pk_fma_f16 v20, v20, 2.0, v3 op_sel_hi:[1,0,1] neg_lo:[0,0,1] neg_hi:[0,0,1]
	v_pack_b32_f16 v6, v21, v26
	v_pack_b32_f16 v21, v25, v22
	ds_write2_b32 v14, v7, v16 offset1:1
	ds_write2_b32 v14, v4, v5 offset0:2 offset1:3
	ds_write2_b32 v24, v20, v6 offset1:1
	ds_write2_b32 v24, v3, v21 offset0:2 offset1:3
	v_cmpx_gt_u32_e32 44, v12
	s_cbranch_execz .LBB0_23
; %bb.22:
	v_lshl_add_u32 v3, v30, 4, 0
	v_perm_b32 v4, v18, v19, 0x5040100
	v_perm_b32 v0, v1, v0, 0x5040100
	ds_write2_b32 v3, v17, v4 offset1:1
	ds_write2_b32 v3, v15, v0 offset0:2 offset1:3
.LBB0_23:
	s_or_b32 exec_lo, exec_lo, s4
	v_add_nc_u32_e32 v3, 0x500, v29
	v_add_nc_u32_e32 v6, 0x1100, v29
	s_waitcnt lgkmcnt(0)
	s_barrier
	buffer_gl0_inv
	ds_read2_b32 v[0:1], v29 offset1:176
	ds_read2_b32 v[4:5], v2 offset0:24 offset1:200
	ds_read2_b32 v[2:3], v3 offset0:32 offset1:208
	;; [unrolled: 1-line block ×3, first 2 shown]
	s_and_saveexec_b32 s1, s0
	s_cbranch_execz .LBB0_25
; %bb.24:
	v_mad_i32_i24 v14, v12, -12, v14
	ds_read_b32 v19, v29 offset:5984
	ds_read_b32 v17, v14 offset:2816
	s_waitcnt lgkmcnt(1)
	v_lshrrev_b32_e32 v18, 16, v19
.LBB0_25:
	s_or_b32 exec_lo, exec_lo, s1
	v_and_b32_e32 v22, 3, v12
	v_lshlrev_b32_e32 v16, 1, v30
	v_lshlrev_b32_e32 v13, 1, v13
	s_waitcnt lgkmcnt(0)
	v_lshrrev_b32_e32 v24, 16, v17
	v_add_nc_u32_e32 v23, 0x2c0, v12
	v_lshlrev_b32_e32 v14, 2, v22
	v_and_or_b32 v28, 0x7f8, v16, v22
	v_and_or_b32 v26, 0x3f8, v13, v22
	v_lshlrev_b32_e32 v27, 1, v23
	global_load_dword v21, v14, s[12:13]
	v_lshl_add_u32 v31, v28, 2, 0
	v_lshlrev_b32_e32 v14, 1, v12
	s_waitcnt vmcnt(0)
	s_barrier
	buffer_gl0_inv
	v_and_or_b32 v25, 0x1f8, v14, v22
	v_add_nc_u32_e32 v20, 0x420, v14
	v_lshl_add_u32 v23, v25, 2, 0
	v_lshl_add_u32 v25, v26, 2, 0
	v_and_or_b32 v26, 0x7f8, v20, v22
	v_lshl_add_u32 v26, v26, 2, 0
	v_mul_f16_sdwa v32, v18, v21 dst_sel:DWORD dst_unused:UNUSED_PAD src0_sel:DWORD src1_sel:WORD_1
	v_pk_mul_f16 v34, v21, v4 op_sel:[0,1]
	v_pk_mul_f16 v28, v21, v7 op_sel:[0,1]
	;; [unrolled: 1-line block ×4, first 2 shown]
	v_mul_f16_sdwa v33, v19, v21 dst_sel:DWORD dst_unused:UNUSED_PAD src0_sel:DWORD src1_sel:WORD_1
	v_fmac_f16_e32 v32, v19, v21
	v_pk_fma_f16 v19, v21, v4, v34 op_sel:[0,0,1] op_sel_hi:[1,1,0]
	v_pk_fma_f16 v4, v21, v4, v34 op_sel:[0,0,1] op_sel_hi:[1,0,0] neg_lo:[1,0,0] neg_hi:[1,0,0]
	v_pk_fma_f16 v37, v21, v7, v28 op_sel:[0,0,1] op_sel_hi:[1,1,0]
	v_pk_fma_f16 v7, v21, v7, v28 op_sel:[0,0,1] op_sel_hi:[1,0,0] neg_lo:[1,0,0] neg_hi:[1,0,0]
	;; [unrolled: 2-line block ×4, first 2 shown]
	v_fma_f16 v21, v18, v21, -v33
	v_bfi_b32 v4, 0xffff, v19, v4
	v_bfi_b32 v5, 0xffff, v28, v5
	;; [unrolled: 1-line block ×4, first 2 shown]
	v_sub_f16_e32 v18, v17, v32
	v_sub_f16_e32 v21, v24, v21
	v_pk_add_f16 v4, v0, v4 neg_lo:[0,1] neg_hi:[0,1]
	v_pk_add_f16 v5, v1, v5 neg_lo:[0,1] neg_hi:[0,1]
	;; [unrolled: 1-line block ×4, first 2 shown]
	v_fma_f16 v19, v17, 2.0, -v18
	v_pk_fma_f16 v0, v0, 2.0, v4 op_sel_hi:[1,0,1] neg_lo:[0,0,1] neg_hi:[0,0,1]
	v_fma_f16 v28, v24, 2.0, -v21
	v_pk_fma_f16 v1, v1, 2.0, v5 op_sel_hi:[1,0,1] neg_lo:[0,0,1] neg_hi:[0,0,1]
	v_pk_fma_f16 v2, v2, 2.0, v6 op_sel_hi:[1,0,1] neg_lo:[0,0,1] neg_hi:[0,0,1]
	;; [unrolled: 1-line block ×3, first 2 shown]
	ds_write2_b32 v23, v0, v4 offset1:4
	ds_write2_b32 v25, v1, v5 offset1:4
	;; [unrolled: 1-line block ×4, first 2 shown]
	s_and_saveexec_b32 s1, s0
	s_cbranch_execz .LBB0_27
; %bb.26:
	v_and_or_b32 v0, 0x7f8, v27, v22
	v_perm_b32 v1, v28, v19, 0x5040100
	v_perm_b32 v2, v21, v18, 0x5040100
	v_lshl_add_u32 v0, v0, 2, 0
	ds_write2_b32 v0, v1, v2 offset1:4
.LBB0_27:
	s_or_b32 exec_lo, exec_lo, s1
	v_add_nc_u32_e32 v0, 0xc00, v29
	v_add_nc_u32_e32 v1, 0x500, v29
	;; [unrolled: 1-line block ×3, first 2 shown]
	s_waitcnt lgkmcnt(0)
	s_barrier
	buffer_gl0_inv
	ds_read2_b32 v[2:3], v29 offset1:176
	ds_read2_b32 v[6:7], v0 offset0:24 offset1:200
	ds_read2_b32 v[0:1], v1 offset0:32 offset1:208
	;; [unrolled: 1-line block ×3, first 2 shown]
	s_and_saveexec_b32 s1, s0
	s_cbranch_execz .LBB0_29
; %bb.28:
	ds_read_b32 v19, v29 offset:2816
	ds_read_b32 v18, v29 offset:5984
	s_waitcnt lgkmcnt(1)
	v_lshrrev_b32_e32 v28, 16, v19
	s_waitcnt lgkmcnt(0)
	v_lshrrev_b32_e32 v21, 16, v18
.LBB0_29:
	s_or_b32 exec_lo, exec_lo, s1
	v_and_b32_e32 v37, 7, v12
	s_waitcnt lgkmcnt(2)
	v_lshrrev_b32_e32 v22, 16, v6
	v_lshrrev_b32_e32 v23, 16, v7
	v_lshrrev_b32_e32 v24, 16, v2
	v_lshrrev_b32_e32 v35, 16, v3
	v_lshlrev_b32_e32 v17, 2, v37
	v_and_or_b32 v25, 0x1f0, v14, v37
	v_and_or_b32 v26, 0x3f0, v13, v37
	;; [unrolled: 1-line block ×4, first 2 shown]
	global_load_dword v17, v17, s[12:13] offset:16
	v_lshl_add_u32 v38, v25, 2, 0
	v_lshl_add_u32 v39, v26, 2, 0
	;; [unrolled: 1-line block ×4, first 2 shown]
	s_waitcnt vmcnt(0) lgkmcnt(0)
	s_barrier
	buffer_gl0_inv
	v_mul_f16_sdwa v20, v17, v22 dst_sel:DWORD dst_unused:UNUSED_PAD src0_sel:WORD_1 src1_sel:DWORD
	v_mul_f16_sdwa v25, v17, v6 dst_sel:DWORD dst_unused:UNUSED_PAD src0_sel:WORD_1 src1_sel:DWORD
	;; [unrolled: 1-line block ×4, first 2 shown]
	v_pk_mul_f16 v32, v17, v5 op_sel:[0,1]
	v_pk_mul_f16 v36, v17, v4 op_sel:[0,1]
	v_mul_f16_sdwa v34, v21, v17 dst_sel:DWORD dst_unused:UNUSED_PAD src0_sel:DWORD src1_sel:WORD_1
	v_mul_f16_sdwa v33, v18, v17 dst_sel:DWORD dst_unused:UNUSED_PAD src0_sel:DWORD src1_sel:WORD_1
	v_fmac_f16_e32 v20, v17, v6
	v_fma_f16 v6, v17, v22, -v25
	v_fmac_f16_e32 v26, v17, v7
	v_fma_f16 v7, v17, v23, -v31
	v_pk_fma_f16 v22, v17, v5, v32 op_sel:[0,0,1] op_sel_hi:[1,1,0]
	v_pk_fma_f16 v5, v17, v5, v32 op_sel:[0,0,1] op_sel_hi:[1,0,0] neg_lo:[1,0,0] neg_hi:[1,0,0]
	v_pk_fma_f16 v23, v17, v4, v36 op_sel:[0,0,1] op_sel_hi:[1,1,0]
	v_pk_fma_f16 v4, v17, v4, v36 op_sel:[0,0,1] op_sel_hi:[1,0,0] neg_lo:[1,0,0] neg_hi:[1,0,0]
	v_fmac_f16_e32 v34, v18, v17
	v_fma_f16 v21, v21, v17, -v33
	v_bfi_b32 v5, 0xffff, v22, v5
	v_sub_f16_e32 v18, v2, v20
	v_sub_f16_e32 v32, v24, v6
	v_bfi_b32 v4, 0xffff, v23, v4
	v_sub_f16_e32 v22, v3, v26
	v_sub_f16_e32 v33, v35, v7
	;; [unrolled: 1-line block ×4, first 2 shown]
	v_fma_f16 v17, v2, 2.0, -v18
	v_fma_f16 v31, v24, 2.0, -v32
	v_pk_add_f16 v24, v1, v5 neg_lo:[0,1] neg_hi:[0,1]
	v_pk_add_f16 v26, v0, v4 neg_lo:[0,1] neg_hi:[0,1]
	v_fma_f16 v21, v3, 2.0, -v22
	v_fma_f16 v35, v35, 2.0, -v33
	;; [unrolled: 1-line block ×3, first 2 shown]
	v_pack_b32_f16 v2, v18, v32
	v_pack_b32_f16 v4, v17, v31
	v_pk_fma_f16 v25, v0, 2.0, v26 op_sel_hi:[1,0,1] neg_lo:[0,0,1] neg_hi:[0,0,1]
	v_pk_fma_f16 v23, v1, 2.0, v24 op_sel_hi:[1,0,1] neg_lo:[0,0,1] neg_hi:[0,0,1]
	v_fma_f16 v36, v28, 2.0, -v34
	v_pack_b32_f16 v3, v22, v33
	v_pack_b32_f16 v5, v21, v35
	ds_write2_b32 v38, v4, v2 offset1:8
	ds_write2_b32 v39, v5, v3 offset1:8
	;; [unrolled: 1-line block ×4, first 2 shown]
	s_and_saveexec_b32 s1, s0
	s_cbranch_execz .LBB0_31
; %bb.30:
	v_and_or_b32 v0, 0x7f0, v27, v37
	v_perm_b32 v1, v36, v19, 0x5040100
	v_perm_b32 v2, v34, v20, 0x5040100
	v_lshl_add_u32 v0, v0, 2, 0
	ds_write2_b32 v0, v1, v2 offset1:8
.LBB0_31:
	s_or_b32 exec_lo, exec_lo, s1
	v_cmp_gt_u32_e64 s0, 0x90, v12
	v_lshrrev_b32_e32 v37, 16, v23
	v_lshrrev_b32_e32 v40, 16, v24
	;; [unrolled: 1-line block ×4, first 2 shown]
	s_waitcnt lgkmcnt(0)
	s_barrier
	buffer_gl0_inv
	s_and_saveexec_b32 s1, s0
	s_cbranch_execz .LBB0_33
; %bb.32:
	v_add_nc_u32_e32 v0, 0x1200, v29
	v_add_nc_u32_e32 v1, 0x400, v29
	;; [unrolled: 1-line block ×3, first 2 shown]
	ds_read2_b32 v[17:18], v29 offset1:144
	ds_read2_b32 v[19:20], v0 offset1:144
	v_add_nc_u32_e32 v0, 0xc00, v29
	ds_read2_b32 v[21:22], v1 offset0:32 offset1:176
	ds_read2_b32 v[25:26], v2 offset0:64 offset1:208
	;; [unrolled: 1-line block ×3, first 2 shown]
	ds_read_b32 v15, v29 offset:5760
	s_waitcnt lgkmcnt(5)
	v_lshrrev_b32_e32 v31, 16, v17
	v_lshrrev_b32_e32 v32, 16, v18
	s_waitcnt lgkmcnt(4)
	v_lshrrev_b32_e32 v36, 16, v19
	v_lshrrev_b32_e32 v34, 16, v20
	;; [unrolled: 3-line block ×5, first 2 shown]
.LBB0_33:
	s_or_b32 exec_lo, exec_lo, s1
	s_waitcnt lgkmcnt(0)
	s_barrier
	buffer_gl0_inv
	s_and_saveexec_b32 s1, s0
	s_cbranch_execz .LBB0_35
; %bb.34:
	v_and_b32_e32 v41, 15, v12
	v_lshrrev_b32_e32 v42, 4, v12
	v_mul_u32_u24_e32 v0, 10, v41
	v_mul_u32_u24_e32 v42, 0xb0, v42
	v_lshlrev_b32_e32 v0, 2, v0
	v_or_b32_e32 v41, v42, v41
	v_lshrrev_b32_e32 v42, 16, v15
	s_clause 0x2
	global_load_dwordx4 v[4:7], v0, s[12:13] offset:48
	global_load_dwordx2 v[27:28], v0, s[12:13] offset:80
	global_load_dwordx4 v[0:3], v0, s[12:13] offset:64
	v_lshl_add_u32 v41, v41, 2, 0
	s_waitcnt vmcnt(2)
	v_mul_f16_sdwa v43, v32, v4 dst_sel:DWORD dst_unused:UNUSED_PAD src0_sel:DWORD src1_sel:WORD_1
	s_waitcnt vmcnt(1)
	v_mul_f16_sdwa v44, v42, v28 dst_sel:DWORD dst_unused:UNUSED_PAD src0_sel:DWORD src1_sel:WORD_1
	v_mul_f16_sdwa v45, v15, v28 dst_sel:DWORD dst_unused:UNUSED_PAD src0_sel:DWORD src1_sel:WORD_1
	;; [unrolled: 1-line block ×7, first 2 shown]
	s_waitcnt vmcnt(0)
	v_mul_f16_sdwa v59, v39, v0 dst_sel:DWORD dst_unused:UNUSED_PAD src0_sel:DWORD src1_sel:WORD_1
	v_fmac_f16_e32 v43, v18, v4
	v_fmac_f16_e32 v44, v15, v28
	v_fma_f16 v15, v42, v28, -v45
	v_fma_f16 v4, v32, v4, -v46
	v_mul_f16_sdwa v51, v33, v6 dst_sel:DWORD dst_unused:UNUSED_PAD src0_sel:DWORD src1_sel:WORD_1
	v_mul_f16_sdwa v54, v22, v6 dst_sel:DWORD dst_unused:UNUSED_PAD src0_sel:DWORD src1_sel:WORD_1
	;; [unrolled: 1-line block ×3, first 2 shown]
	v_fmac_f16_e32 v47, v21, v5
	v_fmac_f16_e32 v48, v20, v27
	v_fma_f16 v18, v34, v27, -v49
	v_fma_f16 v5, v35, v5, -v50
	v_fmac_f16_e32 v59, v26, v0
	v_add_f16_e32 v20, v4, v15
	v_sub_f16_e32 v26, v4, v15
	v_add_f16_e32 v27, v17, v43
	v_add_f16_e32 v4, v31, v4
	v_mul_f16_sdwa v52, v36, v3 dst_sel:DWORD dst_unused:UNUSED_PAD src0_sel:DWORD src1_sel:WORD_1
	v_mul_f16_sdwa v53, v19, v3 dst_sel:DWORD dst_unused:UNUSED_PAD src0_sel:DWORD src1_sel:WORD_1
	;; [unrolled: 1-line block ×8, first 2 shown]
	v_fmac_f16_e32 v51, v22, v6
	v_fma_f16 v6, v33, v6, -v54
	v_add_f16_e32 v22, v5, v18
	v_sub_f16_e32 v35, v5, v18
	v_add_f16_e32 v4, v4, v5
	v_add_f16_e32 v5, v27, v47
	v_fmac_f16_e32 v52, v19, v3
	v_fma_f16 v3, v36, v3, -v53
	v_fmac_f16_e32 v55, v25, v7
	v_fmac_f16_e32 v56, v24, v2
	v_fma_f16 v2, v40, v2, -v57
	v_fma_f16 v7, v38, v7, -v58
	v_fmac_f16_e32 v60, v23, v1
	v_fma_f16 v1, v37, v1, -v61
	v_fma_f16 v0, v39, v0, -v62
	v_sub_f16_e32 v19, v43, v44
	v_add_f16_e32 v5, v5, v51
	v_add_f16_e32 v4, v4, v6
	v_sub_f16_e32 v21, v47, v48
	v_sub_f16_e32 v23, v51, v52
	v_add_f16_e32 v25, v43, v44
	v_sub_f16_e32 v28, v55, v56
	v_sub_f16_e32 v33, v59, v60
	;; [unrolled: 1-line block ×5, first 2 shown]
	v_mul_f16_e32 v45, 0xb853, v19
	v_mul_f16_e32 v50, 0xb853, v26
	;; [unrolled: 1-line block ×10, first 2 shown]
	v_add_f16_e32 v5, v5, v55
	v_add_f16_e32 v4, v4, v7
	;; [unrolled: 1-line block ×9, first 2 shown]
	v_mul_f16_e32 v46, 0xbb47, v21
	v_mul_f16_e32 v49, 0xbbeb, v23
	v_mul_f16_e32 v54, 0xba0c, v21
	v_mul_f16_e32 v61, 0x3482, v21
	v_mul_f16_e32 v64, 0x3beb, v21
	v_mul_f16_e32 v65, 0xb853, v23
	v_mul_f16_e32 v21, 0x3853, v21
	v_mul_f16_e32 v67, 0xba0c, v23
	v_mul_f16_e32 v68, 0x3482, v23
	v_mul_f16_e32 v23, 0x3b47, v23
	v_mul_f16_e32 v69, 0xba0c, v28
	v_mul_f16_e32 v70, 0x3beb, v28
	v_mul_f16_e32 v71, 0xb853, v28
	v_mul_f16_e32 v72, 0xb482, v28
	v_mul_f16_e32 v28, 0x3b47, v28
	v_mul_f16_e32 v73, 0xb482, v33
	v_mul_f16_e32 v74, 0x3853, v33
	v_mul_f16_e32 v75, 0xba0c, v33
	v_mul_f16_e32 v76, 0x3b47, v33
	v_mul_f16_e32 v33, 0xbbeb, v33
	v_mul_f16_e32 v27, 0x3853, v35
	v_mul_f16_e32 v47, 0xbb47, v35
	v_mul_f16_e32 v77, 0x3beb, v35
	v_mul_f16_e32 v78, 0xba0c, v35
	v_mul_f16_e32 v35, 0x3482, v35
	v_mul_f16_e32 v79, 0xbbeb, v37
	v_mul_f16_e32 v80, 0x3482, v37
	v_mul_f16_e32 v81, 0x3b47, v37
	v_mul_f16_e32 v82, 0xb853, v37
	v_mul_f16_e32 v37, 0xba0c, v37
	v_mul_f16_e32 v83, 0xba0c, v39
	v_mul_f16_e32 v84, 0x3beb, v39
	v_mul_f16_e32 v85, 0xb853, v39
	v_mul_f16_e32 v86, 0xb482, v39
	v_mul_f16_e32 v39, 0x3b47, v39
	v_mul_f16_e32 v87, 0xb482, v42
	v_mul_f16_e32 v88, 0x3853, v42
	v_mul_f16_e32 v89, 0xba0c, v42
	v_mul_f16_e32 v90, 0x3b47, v42
	v_mul_f16_e32 v42, 0xbbeb, v42
	v_fmamk_f16 v91, v20, 0x3abb, v45
	v_fma_f16 v93, v25, 0x3abb, -v50
	v_fmamk_f16 v94, v20, 0x36a6, v53
	v_fma_f16 v96, v25, 0x36a6, -v57
	;; [unrolled: 2-line block ×3, first 2 shown]
	v_fma_f16 v100, v25, 0xb93d, -v66
	v_fma_f16 v101, v25, 0xbbad, -v26
	v_fmac_f16_e32 v26, 0xbbad, v25
	v_fmac_f16_e32 v66, 0xb93d, v25
	;; [unrolled: 1-line block ×5, first 2 shown]
	v_fmamk_f16 v103, v20, 0xbbad, v19
	v_fma_f16 v19, v20, 0xbbad, -v19
	v_fma_f16 v58, v20, 0xb08e, -v58
	;; [unrolled: 1-line block ×3, first 2 shown]
	v_fmamk_f16 v25, v20, 0xb93d, v63
	v_fma_f16 v63, v20, 0xb93d, -v63
	v_fma_f16 v20, v20, 0x3abb, -v45
	v_add_f16_e32 v5, v5, v59
	v_add_f16_e32 v0, v4, v0
	v_fmamk_f16 v92, v22, 0x36a6, v46
	v_fmamk_f16 v95, v22, 0xb93d, v54
	;; [unrolled: 1-line block ×5, first 2 shown]
	v_fma_f16 v21, v22, 0x3abb, -v21
	v_fma_f16 v64, v22, 0xb08e, -v64
	;; [unrolled: 1-line block ×5, first 2 shown]
	v_fmamk_f16 v46, v24, 0xb93d, v67
	v_fma_f16 v67, v24, 0xb93d, -v67
	v_fmamk_f16 v104, v24, 0x3abb, v65
	v_fma_f16 v65, v24, 0x3abb, -v65
	;; [unrolled: 2-line block ×15, first 2 shown]
	v_fma_f16 v73, v36, 0x3abb, -v27
	v_fmac_f16_e32 v27, 0x3abb, v36
	v_fma_f16 v116, v36, 0xb08e, -v77
	v_fmac_f16_e32 v77, 0xb08e, v36
	;; [unrolled: 2-line block ×20, first 2 shown]
	v_add_f16_e32 v6, v17, v93
	v_add_f16_e32 v43, v17, v96
	;; [unrolled: 1-line block ×110, first 2 shown]
	v_pack_b32_f16 v17, v17, v33
	v_pack_b32_f16 v18, v28, v23
	;; [unrolled: 1-line block ×11, first 2 shown]
	ds_write2_b32 v41, v17, v18 offset0:32 offset1:48
	ds_write2_b32 v41, v20, v19 offset0:64 offset1:80
	;; [unrolled: 1-line block ×4, first 2 shown]
	ds_write2_b32 v41, v0, v3 offset1:16
	ds_write_b32 v41, v1 offset:640
.LBB0_35:
	s_or_b32 exec_lo, exec_lo, s1
	v_mov_b32_e32 v4, 0xba2f
	v_mov_b32_e32 v15, 0
	s_waitcnt lgkmcnt(0)
	s_barrier
	buffer_gl0_inv
	v_mul_u32_u24_sdwa v4, v30, v4 dst_sel:DWORD dst_unused:UNUSED_PAD src0_sel:WORD_0 src1_sel:DWORD
	v_lshlrev_b64 v[0:1], 2, v[14:15]
	v_add_nc_u32_e32 v25, 0x500, v29
	v_add_nc_u32_e32 v26, 0x1000, v29
	;; [unrolled: 1-line block ×3, first 2 shown]
	v_lshrrev_b32_e32 v4, 23, v4
	ds_read2_b32 v[6:7], v29 offset1:176
	v_add_co_u32 v0, s0, s12, v0
	v_add_co_ci_u32_e64 v1, s0, s13, v1, s0
	v_mul_lo_u16 v4, 0xb0, v4
	ds_read_b32 v28, v29 offset:5632
	v_mov_b32_e32 v14, v15
	global_load_dwordx2 v[2:3], v[0:1], off offset:688
	v_mov_b32_e32 v17, v15
	v_sub_nc_u16 v4, v30, v4
	v_add_co_u32 v0, s0, 0x800, v0
	v_lshlrev_b64 v[13:14], 2, v[13:14]
	v_lshlrev_b64 v[16:17], 2, v[16:17]
	v_and_b32_e32 v24, 0xffff, v4
	v_add_co_ci_u32_e64 v1, s0, 0, v1, s0
	v_add_co_u32 v13, s0, s12, v13
	v_lshlrev_b32_e32 v4, 3, v24
	s_waitcnt lgkmcnt(1)
	v_lshrrev_b32_e32 v30, 16, v6
	v_lshrrev_b32_e32 v31, 16, v7
	v_add_co_ci_u32_e64 v14, s0, s13, v14, s0
	global_load_dwordx2 v[4:5], v4, s[12:13] offset:688
	ds_read2_b32 v[18:19], v25 offset0:32 offset1:208
	ds_read2_b32 v[20:21], v26 offset0:32 offset1:208
	;; [unrolled: 1-line block ×3, first 2 shown]
	s_waitcnt lgkmcnt(3)
	v_lshrrev_b32_e32 v32, 16, v28
	v_lshl_add_u32 v24, v24, 2, 0
	v_add_co_u32 v16, s0, s12, v16
	v_add_co_ci_u32_e64 v17, s0, s13, v17, s0
	v_add_co_u32 v13, s0, 0x800, v13
	v_add_nc_u32_e32 v39, 0x1000, v24
	v_add_co_ci_u32_e64 v14, s0, 0, v14, s0
	s_waitcnt vmcnt(0) lgkmcnt(0)
	s_barrier
	buffer_gl0_inv
	v_lshrrev_b32_e32 v34, 16, v19
	v_lshrrev_b32_e32 v35, 16, v20
	;; [unrolled: 1-line block ×6, first 2 shown]
	v_mul_f16_sdwa v40, v2, v34 dst_sel:DWORD dst_unused:UNUSED_PAD src0_sel:WORD_1 src1_sel:DWORD
	v_mul_f16_sdwa v41, v2, v19 dst_sel:DWORD dst_unused:UNUSED_PAD src0_sel:WORD_1 src1_sel:DWORD
	;; [unrolled: 1-line block ×8, first 2 shown]
	v_fmac_f16_e32 v40, v2, v19
	v_fma_f16 v19, v2, v34, -v41
	v_fmac_f16_e32 v42, v3, v20
	v_fma_f16 v20, v3, v35, -v43
	;; [unrolled: 2-line block ×4, first 2 shown]
	v_add_f16_e32 v22, v40, v42
	v_sub_f16_e32 v34, v19, v20
	v_add_f16_e32 v35, v30, v19
	v_add_f16_e32 v19, v19, v20
	;; [unrolled: 1-line block ×3, first 2 shown]
	v_sub_f16_e32 v41, v2, v3
	v_add_f16_e32 v43, v31, v2
	v_add_f16_e32 v2, v2, v3
	;; [unrolled: 1-line block ×3, first 2 shown]
	v_fma_f16 v6, -0.5, v22, v6
	v_add_f16_e32 v20, v35, v20
	v_fmac_f16_e32 v30, -0.5, v19
	v_add_f16_e32 v19, v37, v46
	v_fmac_f16_e32 v31, -0.5, v2
	v_mul_f16_sdwa v2, v4, v38 dst_sel:DWORD dst_unused:UNUSED_PAD src0_sel:WORD_1 src1_sel:DWORD
	v_mul_f16_sdwa v22, v4, v23 dst_sel:DWORD dst_unused:UNUSED_PAD src0_sel:WORD_1 src1_sel:DWORD
	v_mul_f16_sdwa v35, v32, v5 dst_sel:DWORD dst_unused:UNUSED_PAD src0_sel:DWORD src1_sel:WORD_1
	v_mul_f16_sdwa v37, v28, v5 dst_sel:DWORD dst_unused:UNUSED_PAD src0_sel:DWORD src1_sel:WORD_1
	v_add_f16_e32 v21, v21, v42
	v_fmac_f16_e32 v2, v4, v23
	v_fma_f16 v4, v4, v38, -v22
	v_fmac_f16_e32 v35, v28, v5
	v_fma_f16 v5, v32, v5, -v37
	v_sub_f16_e32 v36, v40, v42
	v_add_f16_e32 v40, v44, v46
	v_pack_b32_f16 v20, v21, v20
	v_add_f16_e32 v21, v2, v35
	v_add_f16_e32 v23, v4, v5
	v_sub_f16_e32 v44, v44, v46
	v_fmac_f16_e32 v7, -0.5, v40
	v_add_f16_e32 v22, v18, v2
	v_sub_f16_e32 v28, v4, v5
	v_add_f16_e32 v4, v33, v4
	v_fmac_f16_e32 v18, -0.5, v21
	v_sub_f16_e32 v2, v2, v35
	v_fmac_f16_e32 v33, -0.5, v23
	v_add_f16_e32 v3, v43, v3
	v_fmamk_f16 v40, v34, 0xbaee, v6
	v_fmac_f16_e32 v6, 0x3aee, v34
	v_fmamk_f16 v34, v36, 0x3aee, v30
	v_fmac_f16_e32 v30, 0xbaee, v36
	;; [unrolled: 2-line block ×4, first 2 shown]
	v_add_f16_e32 v21, v22, v35
	v_add_f16_e32 v4, v4, v5
	v_fmamk_f16 v5, v28, 0xbaee, v18
	v_fmamk_f16 v22, v2, 0x3aee, v33
	v_fmac_f16_e32 v18, 0x3aee, v28
	v_fmac_f16_e32 v33, 0xbaee, v2
	v_pack_b32_f16 v3, v19, v3
	v_pack_b32_f16 v19, v40, v34
	;; [unrolled: 1-line block ×8, first 2 shown]
	ds_write2_b32 v29, v20, v19 offset1:176
	ds_write2_b32 v25, v6, v3 offset0:32 offset1:208
	ds_write2_b32 v27, v2, v7 offset0:64 offset1:240
	;; [unrolled: 1-line block ×3, first 2 shown]
	ds_write_b32 v24, v18 offset:5632
	v_add_co_u32 v2, s0, 0x800, v16
	v_add_co_ci_u32_e64 v3, s0, 0, v17, s0
	s_waitcnt lgkmcnt(0)
	s_barrier
	buffer_gl0_inv
	s_clause 0x2
	global_load_dwordx2 v[0:1], v[0:1], off offset:48
	global_load_dwordx2 v[4:5], v[13:14], off offset:48
	;; [unrolled: 1-line block ×3, first 2 shown]
	ds_read2_b32 v[6:7], v29 offset1:176
	ds_read2_b32 v[13:14], v25 offset0:32 offset1:208
	ds_read_b32 v20, v29 offset:5632
	ds_read2_b32 v[16:17], v26 offset0:32 offset1:208
	ds_read2_b32 v[18:19], v27 offset0:64 offset1:240
	s_waitcnt vmcnt(0) lgkmcnt(0)
	s_barrier
	buffer_gl0_inv
	v_lshrrev_b32_e32 v21, 16, v6
	v_lshrrev_b32_e32 v28, 16, v14
	;; [unrolled: 1-line block ×9, first 2 shown]
	v_mul_f16_sdwa v34, v0, v28 dst_sel:DWORD dst_unused:UNUSED_PAD src0_sel:WORD_1 src1_sel:DWORD
	v_mul_f16_sdwa v35, v0, v14 dst_sel:DWORD dst_unused:UNUSED_PAD src0_sel:WORD_1 src1_sel:DWORD
	;; [unrolled: 1-line block ×10, first 2 shown]
	v_mul_f16_sdwa v44, v24, v3 dst_sel:DWORD dst_unused:UNUSED_PAD src0_sel:DWORD src1_sel:WORD_1
	v_mul_f16_sdwa v45, v20, v3 dst_sel:DWORD dst_unused:UNUSED_PAD src0_sel:DWORD src1_sel:WORD_1
	v_fmac_f16_e32 v34, v0, v14
	v_fma_f16 v0, v0, v28, -v35
	v_fmac_f16_e32 v36, v1, v16
	v_fma_f16 v1, v1, v30, -v37
	;; [unrolled: 2-line block ×6, first 2 shown]
	v_add_f16_e32 v16, v34, v36
	v_sub_f16_e32 v17, v0, v1
	v_add_f16_e32 v18, v21, v0
	v_add_f16_e32 v0, v0, v1
	;; [unrolled: 1-line block ×3, first 2 shown]
	v_sub_f16_e32 v28, v4, v5
	v_add_f16_e32 v30, v22, v4
	v_add_f16_e32 v4, v4, v5
	;; [unrolled: 1-line block ×3, first 2 shown]
	v_sub_f16_e32 v19, v34, v36
	v_add_f16_e32 v33, v42, v44
	v_sub_f16_e32 v34, v2, v3
	v_add_f16_e32 v35, v23, v2
	v_add_f16_e32 v2, v2, v3
	;; [unrolled: 1-line block ×3, first 2 shown]
	v_sub_f16_e32 v31, v38, v40
	v_add_f16_e32 v32, v13, v42
	v_fma_f16 v6, -0.5, v16, v6
	v_fmac_f16_e32 v21, -0.5, v0
	v_fmac_f16_e32 v7, -0.5, v24
	;; [unrolled: 1-line block ×3, first 2 shown]
	v_sub_f16_e32 v37, v42, v44
	v_fmac_f16_e32 v13, -0.5, v33
	v_fmac_f16_e32 v23, -0.5, v2
	v_add_f16_e32 v14, v14, v36
	v_add_f16_e32 v1, v18, v1
	v_add_f16_e32 v0, v20, v40
	v_add_f16_e32 v5, v30, v5
	v_add_f16_e32 v4, v32, v44
	v_add_f16_e32 v3, v35, v3
	v_fmamk_f16 v2, v17, 0xbaee, v6
	v_fmac_f16_e32 v6, 0x3aee, v17
	v_fmamk_f16 v16, v19, 0x3aee, v21
	v_fmac_f16_e32 v21, 0xbaee, v19
	;; [unrolled: 2-line block ×4, first 2 shown]
	v_fmamk_f16 v19, v34, 0xbaee, v13
	v_fmamk_f16 v20, v37, 0x3aee, v23
	v_fmac_f16_e32 v13, 0x3aee, v34
	v_fmac_f16_e32 v23, 0xbaee, v37
	v_pack_b32_f16 v1, v14, v1
	v_pack_b32_f16 v0, v0, v5
	;; [unrolled: 1-line block ×9, first 2 shown]
	ds_write2_b32 v29, v1, v0 offset1:176
	ds_write2_b32 v26, v4, v5 offset0:32 offset1:208
	ds_write2_b32 v25, v3, v2 offset0:32 offset1:208
	;; [unrolled: 1-line block ×3, first 2 shown]
	ds_write_b32 v29, v13 offset:5632
	s_waitcnt lgkmcnt(0)
	s_barrier
	buffer_gl0_inv
	s_and_saveexec_b32 s0, vcc_lo
	s_cbranch_execz .LBB0_37
; %bb.36:
	v_mul_lo_u32 v2, s3, v10
	v_mul_lo_u32 v3, s2, v11
	v_mad_u64_u32 v[0:1], null, s2, v10, 0
	v_lshl_add_u32 v16, v12, 2, 0
	v_mov_b32_e32 v13, v15
	v_add_nc_u32_e32 v14, 0xb0, v12
	ds_read2_b32 v[4:5], v16 offset1:176
	v_add3_u32 v1, v1, v3, v2
	v_lshlrev_b64 v[2:3], 2, v[8:9]
	v_lshlrev_b64 v[6:7], 2, v[12:13]
	v_add_nc_u32_e32 v10, 0x500, v16
	v_lshlrev_b64 v[8:9], 2, v[14:15]
	v_lshlrev_b64 v[0:1], 2, v[0:1]
	v_add_nc_u32_e32 v14, 0x160, v12
	ds_read2_b32 v[10:11], v10 offset0:32 offset1:208
	v_add_co_u32 v13, vcc_lo, s10, v0
	v_add_co_ci_u32_e32 v17, vcc_lo, s11, v1, vcc_lo
	v_lshlrev_b64 v[0:1], 2, v[14:15]
	v_add_co_u32 v18, vcc_lo, v13, v2
	v_add_co_ci_u32_e32 v17, vcc_lo, v17, v3, vcc_lo
	v_add_nc_u32_e32 v14, 0x210, v12
	v_add_co_u32 v2, vcc_lo, v18, v6
	v_add_co_ci_u32_e32 v3, vcc_lo, v17, v7, vcc_lo
	v_add_co_u32 v6, vcc_lo, v18, v8
	v_add_co_ci_u32_e32 v7, vcc_lo, v17, v9, vcc_lo
	s_waitcnt lgkmcnt(1)
	global_store_dword v[2:3], v4, off
	v_lshlrev_b64 v[2:3], 2, v[14:15]
	v_add_nc_u32_e32 v14, 0x2c0, v12
	v_add_co_u32 v0, vcc_lo, v18, v0
	v_add_co_ci_u32_e32 v1, vcc_lo, v17, v1, vcc_lo
	v_add_co_u32 v2, vcc_lo, v18, v2
	v_lshlrev_b64 v[8:9], 2, v[14:15]
	v_add_nc_u32_e32 v14, 0x370, v12
	v_add_co_ci_u32_e32 v3, vcc_lo, v17, v3, vcc_lo
	v_add_nc_u32_e32 v4, 0xa00, v16
	global_store_dword v[6:7], v5, off
	s_waitcnt lgkmcnt(0)
	global_store_dword v[0:1], v10, off
	global_store_dword v[2:3], v11, off
	v_lshlrev_b64 v[2:3], 2, v[14:15]
	v_add_nc_u32_e32 v14, 0x420, v12
	v_add_nc_u32_e32 v6, 0x1000, v16
	ds_read2_b32 v[0:1], v4 offset0:64 offset1:240
	v_add_co_u32 v4, vcc_lo, v18, v8
	v_add_co_ci_u32_e32 v5, vcc_lo, v17, v9, vcc_lo
	v_lshlrev_b64 v[8:9], 2, v[14:15]
	v_add_nc_u32_e32 v14, 0x4d0, v12
	ds_read2_b32 v[6:7], v6 offset0:32 offset1:208
	ds_read_b32 v16, v16 offset:5632
	v_add_co_u32 v2, vcc_lo, v18, v2
	v_lshlrev_b64 v[10:11], 2, v[14:15]
	v_add_nc_u32_e32 v14, 0x580, v12
	v_add_co_ci_u32_e32 v3, vcc_lo, v17, v3, vcc_lo
	v_add_co_u32 v8, vcc_lo, v18, v8
	v_lshlrev_b64 v[12:13], 2, v[14:15]
	v_add_co_ci_u32_e32 v9, vcc_lo, v17, v9, vcc_lo
	v_add_co_u32 v10, vcc_lo, v18, v10
	v_add_co_ci_u32_e32 v11, vcc_lo, v17, v11, vcc_lo
	v_add_co_u32 v12, vcc_lo, v18, v12
	v_add_co_ci_u32_e32 v13, vcc_lo, v17, v13, vcc_lo
	s_waitcnt lgkmcnt(2)
	global_store_dword v[4:5], v0, off
	global_store_dword v[2:3], v1, off
	s_waitcnt lgkmcnt(1)
	global_store_dword v[8:9], v6, off
	global_store_dword v[10:11], v7, off
	s_waitcnt lgkmcnt(0)
	global_store_dword v[12:13], v16, off
.LBB0_37:
	s_endpgm
	.section	.rodata,"a",@progbits
	.p2align	6, 0x0
	.amdhsa_kernel fft_rtc_back_len1584_factors_4_2_2_11_3_3_wgs_176_tpt_176_halfLds_half_op_CI_CI_unitstride_sbrr_C2R_dirReg
		.amdhsa_group_segment_fixed_size 0
		.amdhsa_private_segment_fixed_size 0
		.amdhsa_kernarg_size 104
		.amdhsa_user_sgpr_count 6
		.amdhsa_user_sgpr_private_segment_buffer 1
		.amdhsa_user_sgpr_dispatch_ptr 0
		.amdhsa_user_sgpr_queue_ptr 0
		.amdhsa_user_sgpr_kernarg_segment_ptr 1
		.amdhsa_user_sgpr_dispatch_id 0
		.amdhsa_user_sgpr_flat_scratch_init 0
		.amdhsa_user_sgpr_private_segment_size 0
		.amdhsa_wavefront_size32 1
		.amdhsa_uses_dynamic_stack 0
		.amdhsa_system_sgpr_private_segment_wavefront_offset 0
		.amdhsa_system_sgpr_workgroup_id_x 1
		.amdhsa_system_sgpr_workgroup_id_y 0
		.amdhsa_system_sgpr_workgroup_id_z 0
		.amdhsa_system_sgpr_workgroup_info 0
		.amdhsa_system_vgpr_workitem_id 0
		.amdhsa_next_free_vgpr 132
		.amdhsa_next_free_sgpr 27
		.amdhsa_reserve_vcc 1
		.amdhsa_reserve_flat_scratch 0
		.amdhsa_float_round_mode_32 0
		.amdhsa_float_round_mode_16_64 0
		.amdhsa_float_denorm_mode_32 3
		.amdhsa_float_denorm_mode_16_64 3
		.amdhsa_dx10_clamp 1
		.amdhsa_ieee_mode 1
		.amdhsa_fp16_overflow 0
		.amdhsa_workgroup_processor_mode 1
		.amdhsa_memory_ordered 1
		.amdhsa_forward_progress 0
		.amdhsa_shared_vgpr_count 0
		.amdhsa_exception_fp_ieee_invalid_op 0
		.amdhsa_exception_fp_denorm_src 0
		.amdhsa_exception_fp_ieee_div_zero 0
		.amdhsa_exception_fp_ieee_overflow 0
		.amdhsa_exception_fp_ieee_underflow 0
		.amdhsa_exception_fp_ieee_inexact 0
		.amdhsa_exception_int_div_zero 0
	.end_amdhsa_kernel
	.text
.Lfunc_end0:
	.size	fft_rtc_back_len1584_factors_4_2_2_11_3_3_wgs_176_tpt_176_halfLds_half_op_CI_CI_unitstride_sbrr_C2R_dirReg, .Lfunc_end0-fft_rtc_back_len1584_factors_4_2_2_11_3_3_wgs_176_tpt_176_halfLds_half_op_CI_CI_unitstride_sbrr_C2R_dirReg
                                        ; -- End function
	.section	.AMDGPU.csdata,"",@progbits
; Kernel info:
; codeLenInByte = 9096
; NumSgprs: 29
; NumVgprs: 132
; ScratchSize: 0
; MemoryBound: 0
; FloatMode: 240
; IeeeMode: 1
; LDSByteSize: 0 bytes/workgroup (compile time only)
; SGPRBlocks: 3
; VGPRBlocks: 16
; NumSGPRsForWavesPerEU: 29
; NumVGPRsForWavesPerEU: 132
; Occupancy: 7
; WaveLimiterHint : 1
; COMPUTE_PGM_RSRC2:SCRATCH_EN: 0
; COMPUTE_PGM_RSRC2:USER_SGPR: 6
; COMPUTE_PGM_RSRC2:TRAP_HANDLER: 0
; COMPUTE_PGM_RSRC2:TGID_X_EN: 1
; COMPUTE_PGM_RSRC2:TGID_Y_EN: 0
; COMPUTE_PGM_RSRC2:TGID_Z_EN: 0
; COMPUTE_PGM_RSRC2:TIDIG_COMP_CNT: 0
	.text
	.p2alignl 6, 3214868480
	.fill 48, 4, 3214868480
	.type	__hip_cuid_b14137925e76d312,@object ; @__hip_cuid_b14137925e76d312
	.section	.bss,"aw",@nobits
	.globl	__hip_cuid_b14137925e76d312
__hip_cuid_b14137925e76d312:
	.byte	0                               ; 0x0
	.size	__hip_cuid_b14137925e76d312, 1

	.ident	"AMD clang version 19.0.0git (https://github.com/RadeonOpenCompute/llvm-project roc-6.4.0 25133 c7fe45cf4b819c5991fe208aaa96edf142730f1d)"
	.section	".note.GNU-stack","",@progbits
	.addrsig
	.addrsig_sym __hip_cuid_b14137925e76d312
	.amdgpu_metadata
---
amdhsa.kernels:
  - .args:
      - .actual_access:  read_only
        .address_space:  global
        .offset:         0
        .size:           8
        .value_kind:     global_buffer
      - .offset:         8
        .size:           8
        .value_kind:     by_value
      - .actual_access:  read_only
        .address_space:  global
        .offset:         16
        .size:           8
        .value_kind:     global_buffer
      - .actual_access:  read_only
        .address_space:  global
        .offset:         24
        .size:           8
        .value_kind:     global_buffer
      - .actual_access:  read_only
        .address_space:  global
        .offset:         32
        .size:           8
        .value_kind:     global_buffer
      - .offset:         40
        .size:           8
        .value_kind:     by_value
      - .actual_access:  read_only
        .address_space:  global
        .offset:         48
        .size:           8
        .value_kind:     global_buffer
      - .actual_access:  read_only
        .address_space:  global
        .offset:         56
        .size:           8
        .value_kind:     global_buffer
      - .offset:         64
        .size:           4
        .value_kind:     by_value
      - .actual_access:  read_only
        .address_space:  global
        .offset:         72
        .size:           8
        .value_kind:     global_buffer
      - .actual_access:  read_only
        .address_space:  global
        .offset:         80
        .size:           8
        .value_kind:     global_buffer
      - .actual_access:  read_only
        .address_space:  global
        .offset:         88
        .size:           8
        .value_kind:     global_buffer
      - .actual_access:  write_only
        .address_space:  global
        .offset:         96
        .size:           8
        .value_kind:     global_buffer
    .group_segment_fixed_size: 0
    .kernarg_segment_align: 8
    .kernarg_segment_size: 104
    .language:       OpenCL C
    .language_version:
      - 2
      - 0
    .max_flat_workgroup_size: 176
    .name:           fft_rtc_back_len1584_factors_4_2_2_11_3_3_wgs_176_tpt_176_halfLds_half_op_CI_CI_unitstride_sbrr_C2R_dirReg
    .private_segment_fixed_size: 0
    .sgpr_count:     29
    .sgpr_spill_count: 0
    .symbol:         fft_rtc_back_len1584_factors_4_2_2_11_3_3_wgs_176_tpt_176_halfLds_half_op_CI_CI_unitstride_sbrr_C2R_dirReg.kd
    .uniform_work_group_size: 1
    .uses_dynamic_stack: false
    .vgpr_count:     132
    .vgpr_spill_count: 0
    .wavefront_size: 32
    .workgroup_processor_mode: 1
amdhsa.target:   amdgcn-amd-amdhsa--gfx1030
amdhsa.version:
  - 1
  - 2
...

	.end_amdgpu_metadata
